;; amdgpu-corpus repo=ROCm/rocFFT kind=compiled arch=gfx906 opt=O3
	.text
	.amdgcn_target "amdgcn-amd-amdhsa--gfx906"
	.amdhsa_code_object_version 6
	.protected	fft_rtc_back_len198_factors_11_2_9_wgs_110_tpt_22_half_ip_CI_sbrr_dirReg ; -- Begin function fft_rtc_back_len198_factors_11_2_9_wgs_110_tpt_22_half_ip_CI_sbrr_dirReg
	.globl	fft_rtc_back_len198_factors_11_2_9_wgs_110_tpt_22_half_ip_CI_sbrr_dirReg
	.p2align	8
	.type	fft_rtc_back_len198_factors_11_2_9_wgs_110_tpt_22_half_ip_CI_sbrr_dirReg,@function
fft_rtc_back_len198_factors_11_2_9_wgs_110_tpt_22_half_ip_CI_sbrr_dirReg: ; @fft_rtc_back_len198_factors_11_2_9_wgs_110_tpt_22_half_ip_CI_sbrr_dirReg
; %bb.0:
	s_load_dwordx2 s[2:3], s[4:5], 0x18
	s_load_dwordx4 s[8:11], s[4:5], 0x0
	s_load_dwordx2 s[14:15], s[4:5], 0x50
	v_mul_u32_u24_e32 v1, 0xba3, v0
	v_lshrrev_b32_e32 v1, 16, v1
	s_waitcnt lgkmcnt(0)
	s_load_dwordx2 s[12:13], s[2:3], 0x0
	v_mad_u64_u32 v[3:4], s[0:1], s6, 5, v[1:2]
	v_mov_b32_e32 v5, 0
	v_cmp_lt_u64_e64 s[0:1], s[10:11], 2
	v_mov_b32_e32 v4, v5
	v_mov_b32_e32 v1, 0
	;; [unrolled: 1-line block ×3, first 2 shown]
	s_and_b64 vcc, exec, s[0:1]
	v_mov_b32_e32 v2, 0
	v_mov_b32_e32 v9, v3
	s_cbranch_vccnz .LBB0_8
; %bb.1:
	s_load_dwordx2 s[0:1], s[4:5], 0x10
	s_add_u32 s6, s2, 8
	s_addc_u32 s7, s3, 0
	v_mov_b32_e32 v1, 0
	v_mov_b32_e32 v8, v4
	s_waitcnt lgkmcnt(0)
	s_add_u32 s18, s0, 8
	s_mov_b64 s[16:17], 1
	v_mov_b32_e32 v2, 0
	s_addc_u32 s19, s1, 0
	v_mov_b32_e32 v7, v3
.LBB0_2:                                ; =>This Inner Loop Header: Depth=1
	s_load_dwordx2 s[20:21], s[18:19], 0x0
                                        ; implicit-def: $vgpr9_vgpr10
	s_waitcnt lgkmcnt(0)
	v_or_b32_e32 v6, s21, v8
	v_cmp_ne_u64_e32 vcc, 0, v[5:6]
	s_and_saveexec_b64 s[0:1], vcc
	s_xor_b64 s[22:23], exec, s[0:1]
	s_cbranch_execz .LBB0_4
; %bb.3:                                ;   in Loop: Header=BB0_2 Depth=1
	v_cvt_f32_u32_e32 v4, s20
	v_cvt_f32_u32_e32 v6, s21
	s_sub_u32 s0, 0, s20
	s_subb_u32 s1, 0, s21
	v_mac_f32_e32 v4, 0x4f800000, v6
	v_rcp_f32_e32 v4, v4
	v_mul_f32_e32 v4, 0x5f7ffffc, v4
	v_mul_f32_e32 v6, 0x2f800000, v4
	v_trunc_f32_e32 v6, v6
	v_mac_f32_e32 v4, 0xcf800000, v6
	v_cvt_u32_f32_e32 v6, v6
	v_cvt_u32_f32_e32 v4, v4
	v_mul_lo_u32 v9, s0, v6
	v_mul_hi_u32 v10, s0, v4
	v_mul_lo_u32 v12, s1, v4
	v_mul_lo_u32 v11, s0, v4
	v_add_u32_e32 v9, v10, v9
	v_add_u32_e32 v9, v9, v12
	v_mul_hi_u32 v10, v4, v11
	v_mul_lo_u32 v12, v4, v9
	v_mul_hi_u32 v14, v4, v9
	v_mul_hi_u32 v13, v6, v11
	v_mul_lo_u32 v11, v6, v11
	v_mul_hi_u32 v15, v6, v9
	v_add_co_u32_e32 v10, vcc, v10, v12
	v_addc_co_u32_e32 v12, vcc, 0, v14, vcc
	v_mul_lo_u32 v9, v6, v9
	v_add_co_u32_e32 v10, vcc, v10, v11
	v_addc_co_u32_e32 v10, vcc, v12, v13, vcc
	v_addc_co_u32_e32 v11, vcc, 0, v15, vcc
	v_add_co_u32_e32 v9, vcc, v10, v9
	v_addc_co_u32_e32 v10, vcc, 0, v11, vcc
	v_add_co_u32_e32 v4, vcc, v4, v9
	v_addc_co_u32_e32 v6, vcc, v6, v10, vcc
	v_mul_lo_u32 v9, s0, v6
	v_mul_hi_u32 v10, s0, v4
	v_mul_lo_u32 v11, s1, v4
	v_mul_lo_u32 v12, s0, v4
	v_add_u32_e32 v9, v10, v9
	v_add_u32_e32 v9, v9, v11
	v_mul_lo_u32 v13, v4, v9
	v_mul_hi_u32 v14, v4, v12
	v_mul_hi_u32 v15, v4, v9
	;; [unrolled: 1-line block ×3, first 2 shown]
	v_mul_lo_u32 v12, v6, v12
	v_mul_hi_u32 v10, v6, v9
	v_add_co_u32_e32 v13, vcc, v14, v13
	v_addc_co_u32_e32 v14, vcc, 0, v15, vcc
	v_mul_lo_u32 v9, v6, v9
	v_add_co_u32_e32 v12, vcc, v13, v12
	v_addc_co_u32_e32 v11, vcc, v14, v11, vcc
	v_addc_co_u32_e32 v10, vcc, 0, v10, vcc
	v_add_co_u32_e32 v9, vcc, v11, v9
	v_addc_co_u32_e32 v10, vcc, 0, v10, vcc
	v_add_co_u32_e32 v4, vcc, v4, v9
	v_addc_co_u32_e32 v6, vcc, v6, v10, vcc
	v_mad_u64_u32 v[9:10], s[0:1], v7, v6, 0
	v_mul_hi_u32 v11, v7, v4
	v_add_co_u32_e32 v13, vcc, v11, v9
	v_addc_co_u32_e32 v14, vcc, 0, v10, vcc
	v_mad_u64_u32 v[9:10], s[0:1], v8, v4, 0
	v_mad_u64_u32 v[11:12], s[0:1], v8, v6, 0
	v_add_co_u32_e32 v4, vcc, v13, v9
	v_addc_co_u32_e32 v4, vcc, v14, v10, vcc
	v_addc_co_u32_e32 v6, vcc, 0, v12, vcc
	v_add_co_u32_e32 v4, vcc, v4, v11
	v_addc_co_u32_e32 v6, vcc, 0, v6, vcc
	v_mul_lo_u32 v11, s21, v4
	v_mul_lo_u32 v12, s20, v6
	v_mad_u64_u32 v[9:10], s[0:1], s20, v4, 0
	v_add3_u32 v10, v10, v12, v11
	v_sub_u32_e32 v11, v8, v10
	v_mov_b32_e32 v12, s21
	v_sub_co_u32_e32 v9, vcc, v7, v9
	v_subb_co_u32_e64 v11, s[0:1], v11, v12, vcc
	v_subrev_co_u32_e64 v12, s[0:1], s20, v9
	v_subbrev_co_u32_e64 v11, s[0:1], 0, v11, s[0:1]
	v_cmp_le_u32_e64 s[0:1], s21, v11
	v_cndmask_b32_e64 v13, 0, -1, s[0:1]
	v_cmp_le_u32_e64 s[0:1], s20, v12
	v_cndmask_b32_e64 v12, 0, -1, s[0:1]
	v_cmp_eq_u32_e64 s[0:1], s21, v11
	v_cndmask_b32_e64 v11, v13, v12, s[0:1]
	v_add_co_u32_e64 v12, s[0:1], 2, v4
	v_addc_co_u32_e64 v13, s[0:1], 0, v6, s[0:1]
	v_add_co_u32_e64 v14, s[0:1], 1, v4
	v_addc_co_u32_e64 v15, s[0:1], 0, v6, s[0:1]
	v_subb_co_u32_e32 v10, vcc, v8, v10, vcc
	v_cmp_ne_u32_e64 s[0:1], 0, v11
	v_cmp_le_u32_e32 vcc, s21, v10
	v_cndmask_b32_e64 v11, v15, v13, s[0:1]
	v_cndmask_b32_e64 v13, 0, -1, vcc
	v_cmp_le_u32_e32 vcc, s20, v9
	v_cndmask_b32_e64 v9, 0, -1, vcc
	v_cmp_eq_u32_e32 vcc, s21, v10
	v_cndmask_b32_e32 v9, v13, v9, vcc
	v_cmp_ne_u32_e32 vcc, 0, v9
	v_cndmask_b32_e32 v10, v6, v11, vcc
	v_cndmask_b32_e64 v6, v14, v12, s[0:1]
	v_cndmask_b32_e32 v9, v4, v6, vcc
.LBB0_4:                                ;   in Loop: Header=BB0_2 Depth=1
	s_andn2_saveexec_b64 s[0:1], s[22:23]
	s_cbranch_execz .LBB0_6
; %bb.5:                                ;   in Loop: Header=BB0_2 Depth=1
	v_cvt_f32_u32_e32 v4, s20
	s_sub_i32 s22, 0, s20
	v_rcp_iflag_f32_e32 v4, v4
	v_mul_f32_e32 v4, 0x4f7ffffe, v4
	v_cvt_u32_f32_e32 v4, v4
	v_mul_lo_u32 v6, s22, v4
	v_mul_hi_u32 v6, v4, v6
	v_add_u32_e32 v4, v4, v6
	v_mul_hi_u32 v4, v7, v4
	v_mul_lo_u32 v6, v4, s20
	v_add_u32_e32 v9, 1, v4
	v_sub_u32_e32 v6, v7, v6
	v_subrev_u32_e32 v10, s20, v6
	v_cmp_le_u32_e32 vcc, s20, v6
	v_cndmask_b32_e32 v6, v6, v10, vcc
	v_cndmask_b32_e32 v4, v4, v9, vcc
	v_add_u32_e32 v9, 1, v4
	v_cmp_le_u32_e32 vcc, s20, v6
	v_cndmask_b32_e32 v9, v4, v9, vcc
	v_mov_b32_e32 v10, v5
.LBB0_6:                                ;   in Loop: Header=BB0_2 Depth=1
	s_or_b64 exec, exec, s[0:1]
	v_mul_lo_u32 v4, v10, s20
	v_mul_lo_u32 v6, v9, s21
	v_mad_u64_u32 v[11:12], s[0:1], v9, s20, 0
	s_load_dwordx2 s[0:1], s[6:7], 0x0
	s_add_u32 s16, s16, 1
	v_add3_u32 v4, v12, v6, v4
	v_sub_co_u32_e32 v6, vcc, v7, v11
	v_subb_co_u32_e32 v4, vcc, v8, v4, vcc
	s_waitcnt lgkmcnt(0)
	v_mul_lo_u32 v4, s0, v4
	v_mul_lo_u32 v7, s1, v6
	v_mad_u64_u32 v[1:2], s[0:1], s0, v6, v[1:2]
	s_addc_u32 s17, s17, 0
	s_add_u32 s6, s6, 8
	v_add3_u32 v2, v7, v2, v4
	v_mov_b32_e32 v6, s10
	v_mov_b32_e32 v7, s11
	s_addc_u32 s7, s7, 0
	v_cmp_ge_u64_e32 vcc, s[16:17], v[6:7]
	s_add_u32 s18, s18, 8
	s_addc_u32 s19, s19, 0
	s_cbranch_vccnz .LBB0_8
; %bb.7:                                ;   in Loop: Header=BB0_2 Depth=1
	v_mov_b32_e32 v7, v9
	v_mov_b32_e32 v8, v10
	s_branch .LBB0_2
.LBB0_8:
	s_lshl_b64 s[0:1], s[10:11], 3
	s_add_u32 s0, s2, s0
	s_addc_u32 s1, s3, s1
	s_load_dwordx2 s[2:3], s[0:1], 0x0
	s_load_dwordx2 s[6:7], s[4:5], 0x20
                                        ; implicit-def: $vgpr7
                                        ; implicit-def: $vgpr8
                                        ; implicit-def: $vgpr14
                                        ; implicit-def: $vgpr15
                                        ; implicit-def: $vgpr16
                                        ; implicit-def: $vgpr17
                                        ; implicit-def: $vgpr18
	s_waitcnt lgkmcnt(0)
	v_mad_u64_u32 v[1:2], s[0:1], s2, v9, v[1:2]
	s_mov_b32 s0, 0xba2e8bb
	v_mul_lo_u32 v4, s2, v10
	v_mul_lo_u32 v5, s3, v9
	v_mul_hi_u32 v6, v0, s0
	v_cmp_gt_u64_e32 vcc, s[6:7], v[9:10]
                                        ; implicit-def: $vgpr9
                                        ; implicit-def: $vgpr10
	v_add3_u32 v2, v5, v2, v4
	v_mul_u32_u24_e32 v4, 22, v6
	v_sub_u32_e32 v11, v0, v4
	v_mov_b32_e32 v0, 0
	v_mov_b32_e32 v5, 0
                                        ; implicit-def: $vgpr6
	s_and_saveexec_b64 s[2:3], vcc
	s_cbranch_execz .LBB0_12
; %bb.9:
	v_cmp_gt_u32_e64 s[0:1], 18, v11
	v_mov_b32_e32 v5, 0
                                        ; implicit-def: $vgpr18
                                        ; implicit-def: $vgpr17
                                        ; implicit-def: $vgpr16
                                        ; implicit-def: $vgpr15
                                        ; implicit-def: $vgpr14
                                        ; implicit-def: $vgpr10
                                        ; implicit-def: $vgpr9
                                        ; implicit-def: $vgpr8
                                        ; implicit-def: $vgpr7
                                        ; implicit-def: $vgpr6
	s_and_saveexec_b64 s[4:5], s[0:1]
	s_cbranch_execz .LBB0_11
; %bb.10:
	v_mad_u64_u32 v[4:5], s[0:1], s12, v11, 0
	v_add_u32_e32 v10, 18, v11
	v_mad_u64_u32 v[8:9], s[0:1], s12, v10, 0
	v_mov_b32_e32 v0, v5
	v_mad_u64_u32 v[5:6], s[0:1], s13, v11, v[0:1]
	v_lshlrev_b64 v[6:7], 2, v[1:2]
	v_mov_b32_e32 v0, s15
	v_add_co_u32_e64 v14, s[0:1], s14, v6
	v_addc_co_u32_e64 v15, s[0:1], v0, v7, s[0:1]
	v_mov_b32_e32 v0, v9
	v_mad_u64_u32 v[6:7], s[0:1], s13, v10, v[0:1]
	v_add_u32_e32 v7, 36, v11
	v_mad_u64_u32 v[12:13], s[0:1], s12, v7, 0
	v_lshlrev_b64 v[4:5], 2, v[4:5]
	v_mov_b32_e32 v9, v6
	v_add_co_u32_e64 v19, s[0:1], v14, v4
	v_mov_b32_e32 v0, v13
	v_addc_co_u32_e64 v20, s[0:1], v15, v5, s[0:1]
	v_lshlrev_b64 v[4:5], 2, v[8:9]
	v_mad_u64_u32 v[6:7], s[0:1], s13, v7, v[0:1]
	v_add_u32_e32 v9, 54, v11
	v_mad_u64_u32 v[7:8], s[0:1], s12, v9, 0
	v_add_co_u32_e64 v21, s[0:1], v14, v4
	v_mov_b32_e32 v0, v8
	v_addc_co_u32_e64 v22, s[0:1], v15, v5, s[0:1]
	v_mov_b32_e32 v13, v6
	v_mad_u64_u32 v[8:9], s[0:1], s13, v9, v[0:1]
	v_add_u32_e32 v6, 0x48, v11
	v_mad_u64_u32 v[9:10], s[0:1], s12, v6, 0
	v_lshlrev_b64 v[4:5], 2, v[12:13]
	v_add_u32_e32 v16, 0x5a, v11
	v_add_co_u32_e64 v12, s[0:1], v14, v4
	v_mov_b32_e32 v0, v10
	v_addc_co_u32_e64 v13, s[0:1], v15, v5, s[0:1]
	v_lshlrev_b64 v[4:5], 2, v[7:8]
	v_mad_u64_u32 v[6:7], s[0:1], s13, v6, v[0:1]
	v_mad_u64_u32 v[7:8], s[0:1], s12, v16, 0
	v_add_co_u32_e64 v23, s[0:1], v14, v4
	v_mov_b32_e32 v10, v6
	v_mov_b32_e32 v0, v8
	v_addc_co_u32_e64 v24, s[0:1], v15, v5, s[0:1]
	v_lshlrev_b64 v[4:5], 2, v[9:10]
	v_mad_u64_u32 v[8:9], s[0:1], s13, v16, v[0:1]
	v_add_u32_e32 v6, 0x6c, v11
	v_mad_u64_u32 v[9:10], s[0:1], s12, v6, 0
	v_add_co_u32_e64 v25, s[0:1], v14, v4
	v_mov_b32_e32 v0, v10
	v_addc_co_u32_e64 v26, s[0:1], v15, v5, s[0:1]
	v_lshlrev_b64 v[4:5], 2, v[7:8]
	v_mad_u64_u32 v[6:7], s[0:1], s13, v6, v[0:1]
	v_add_u32_e32 v16, 0x7e, v11
	v_mad_u64_u32 v[7:8], s[0:1], s12, v16, 0
	v_add_co_u32_e64 v27, s[0:1], v14, v4
	v_mov_b32_e32 v10, v6
	v_mov_b32_e32 v0, v8
	v_addc_co_u32_e64 v28, s[0:1], v15, v5, s[0:1]
	v_lshlrev_b64 v[4:5], 2, v[9:10]
	v_mad_u64_u32 v[8:9], s[0:1], s13, v16, v[0:1]
	v_add_u32_e32 v6, 0x90, v11
	v_mad_u64_u32 v[9:10], s[0:1], s12, v6, 0
	v_add_co_u32_e64 v29, s[0:1], v14, v4
	v_mov_b32_e32 v0, v10
	v_addc_co_u32_e64 v30, s[0:1], v15, v5, s[0:1]
	v_lshlrev_b64 v[4:5], 2, v[7:8]
	v_mad_u64_u32 v[6:7], s[0:1], s13, v6, v[0:1]
	v_add_u32_e32 v16, 0xa2, v11
	v_mad_u64_u32 v[7:8], s[0:1], s12, v16, 0
	v_add_co_u32_e64 v31, s[0:1], v14, v4
	v_mov_b32_e32 v10, v6
	v_mov_b32_e32 v0, v8
	v_addc_co_u32_e64 v32, s[0:1], v15, v5, s[0:1]
	v_lshlrev_b64 v[4:5], 2, v[9:10]
	v_mad_u64_u32 v[8:9], s[0:1], s13, v16, v[0:1]
	v_add_u32_e32 v6, 0xb4, v11
	v_mad_u64_u32 v[9:10], s[0:1], s12, v6, 0
	v_add_co_u32_e64 v33, s[0:1], v14, v4
	v_mov_b32_e32 v0, v10
	v_addc_co_u32_e64 v34, s[0:1], v15, v5, s[0:1]
	v_lshlrev_b64 v[4:5], 2, v[7:8]
	v_mad_u64_u32 v[6:7], s[0:1], s13, v6, v[0:1]
	v_add_co_u32_e64 v35, s[0:1], v14, v4
	v_mov_b32_e32 v10, v6
	v_addc_co_u32_e64 v36, s[0:1], v15, v5, s[0:1]
	v_lshlrev_b64 v[4:5], 2, v[9:10]
	v_add_co_u32_e64 v37, s[0:1], v14, v4
	v_addc_co_u32_e64 v38, s[0:1], v15, v5, s[0:1]
	global_load_dword v5, v[19:20], off
	global_load_dword v17, v[21:22], off
	;; [unrolled: 1-line block ×11, first 2 shown]
.LBB0_11:
	s_or_b64 exec, exec, s[4:5]
	v_mov_b32_e32 v0, v11
.LBB0_12:
	s_or_b64 exec, exec, s[2:3]
	s_mov_b32 s0, 0xcccccccd
	v_mul_hi_u32 v4, v3, s0
	s_waitcnt vmcnt(0)
	v_pk_add_f16 v25, v17, v18 neg_lo:[0,1] neg_hi:[0,1]
	v_lshrrev_b32_e32 v24, 16, v25
	v_pk_add_f16 v28, v15, v16 neg_lo:[0,1] neg_hi:[0,1]
	v_lshrrev_b32_e32 v4, 2, v4
	v_pk_add_f16 v20, v17, v18
	s_movk_i32 s4, 0x36a6
	v_lshl_add_u32 v4, v4, 2, v4
	v_mul_f16_e32 v29, 0xbb47, v24
	v_lshrrev_b32_e32 v27, 16, v28
	v_sub_u32_e32 v19, v3, v4
	v_fma_f16 v3, v20, s4, -v29
	s_mov_b32 s5, 0xb08e
	v_mul_f16_e32 v40, 0xbbeb, v24
	v_pk_add_f16 v21, v15, v16
	s_mov_b32 s6, 0xb93d
	v_mul_f16_e32 v33, 0xba0c, v27
	v_pk_add_f16 v31, v10, v14 neg_lo:[0,1] neg_hi:[0,1]
	v_add_f16_e32 v3, v5, v3
	v_fma_f16 v4, v20, s5, -v40
	v_fma_f16 v12, v21, s6, -v33
	s_mov_b32 s7, 0xbbad
	v_mul_f16_e32 v46, 0x3482, v27
	v_lshrrev_b32_e32 v30, 16, v31
	v_add_f16_e32 v4, v5, v4
	v_add_f16_e32 v3, v12, v3
	v_fma_f16 v12, v21, s7, -v46
	v_pk_add_f16 v22, v10, v14
	v_mul_f16_e32 v35, 0x3482, v30
	v_pk_add_f16 v34, v8, v9 neg_lo:[0,1] neg_hi:[0,1]
	v_add_f16_e32 v4, v12, v4
	v_fma_f16 v12, v22, s7, -v35
	v_mul_f16_e32 v47, 0x3b47, v30
	v_lshrrev_b32_e32 v32, 16, v34
	v_add_f16_e32 v3, v12, v3
	v_fma_f16 v12, v22, s4, -v47
	v_pk_add_f16 v23, v8, v9
	v_mul_f16_e32 v41, 0x3beb, v32
	v_pk_add_f16 v39, v6, v7 neg_lo:[0,1] neg_hi:[0,1]
	v_add_f16_e32 v4, v12, v4
	v_fma_f16 v12, v23, s5, -v41
	s_movk_i32 s10, 0x3abb
	v_mul_f16_e32 v48, 0xb853, v32
	v_lshrrev_b32_e32 v36, 16, v39
	v_add_f16_e32 v3, v12, v3
	v_fma_f16 v12, v23, s10, -v48
	v_pk_add_f16 v26, v6, v7
	v_mul_f16_e32 v45, 0x3853, v36
	v_add_f16_e32 v12, v12, v4
	v_fma_f16 v4, v26, s10, -v45
	v_mul_f16_e32 v49, 0xba0c, v36
	v_add_f16_e32 v4, v4, v3
	v_fma_f16 v3, v26, s6, -v49
	v_lshrrev_b32_e32 v37, 16, v20
	v_mul_f16_e32 v50, 0xbb47, v25
	v_add_f16_e32 v3, v3, v12
	v_fma_f16 v12, v37, s4, v50
	v_lshrrev_b32_e32 v38, 16, v21
	v_mul_f16_e32 v51, 0xba0c, v28
	v_add_f16_sdwa v12, v5, v12 dst_sel:DWORD dst_unused:UNUSED_PAD src0_sel:WORD_1 src1_sel:DWORD
	v_fma_f16 v13, v38, s6, v51
	v_mul_f16_e32 v55, 0xbbeb, v25
	v_add_f16_e32 v12, v13, v12
	v_fma_f16 v13, v37, s5, v55
	v_mul_f16_e32 v56, 0x3482, v28
	v_add_f16_sdwa v13, v5, v13 dst_sel:DWORD dst_unused:UNUSED_PAD src0_sel:WORD_1 src1_sel:DWORD
	v_fma_f16 v42, v38, s7, v56
	v_add_f16_e32 v13, v42, v13
	v_lshrrev_b32_e32 v42, 16, v22
	v_mul_f16_e32 v52, 0x3482, v31
	v_fma_f16 v43, v42, s7, v52
	v_mul_f16_e32 v57, 0x3b47, v31
	v_add_f16_e32 v12, v43, v12
	v_fma_f16 v43, v42, s4, v57
	v_add_f16_e32 v13, v43, v13
	v_lshrrev_b32_e32 v43, 16, v23
	v_mul_f16_e32 v53, 0x3beb, v34
	v_fma_f16 v44, v43, s5, v53
	v_mul_f16_e32 v58, 0xb853, v34
	v_add_f16_e32 v12, v44, v12
	;; [unrolled: 7-line block ×3, first 2 shown]
	v_fma_f16 v12, v44, s6, v59
	v_mul_u32_u24_e32 v19, 0xc6, v19
	v_add_f16_e32 v12, v12, v60
	s_mov_b32 s20, 0xbb47
	s_mov_b32 s19, 0xbbeb
	;; [unrolled: 1-line block ×3, first 2 shown]
	s_movk_i32 s22, 0x3482
	s_movk_i32 s11, 0x3b47
	;; [unrolled: 1-line block ×3, first 2 shown]
	s_mov_b32 s17, 0xb853
	s_movk_i32 s21, 0x3853
	v_cmp_gt_u32_e64 s[0:1], 18, v11
	v_lshlrev_b32_e32 v19, 2, v19
	s_and_saveexec_b64 s[2:3], s[0:1]
	s_cbranch_execz .LBB0_14
; %bb.13:
	v_mul_f16_e32 v60, 0xba0c, v25
	v_fma_f16 v61, v37, s6, v60
	v_mul_f16_e32 v62, 0x3beb, v28
	v_add_f16_sdwa v61, v5, v61 dst_sel:DWORD dst_unused:UNUSED_PAD src0_sel:WORD_1 src1_sel:DWORD
	v_fma_f16 v63, v38, s5, v62
	v_add_f16_e32 v61, v63, v61
	v_mul_f16_e32 v63, 0xb853, v31
	v_fma_f16 v64, v42, s10, v63
	v_add_f16_e32 v61, v64, v61
	v_mul_f16_e32 v64, 0xb482, v34
	;; [unrolled: 3-line block ×3, first 2 shown]
	v_fma_f16 v66, v44, s4, v65
	v_fma_f16 v60, v37, s6, -v60
	v_add_f16_e32 v61, v66, v61
	s_movk_i32 s0, 0x3a0c
	v_mul_f16_e32 v66, 0xb93d, v20
	v_add_f16_sdwa v60, v5, v60 dst_sel:DWORD dst_unused:UNUSED_PAD src0_sel:WORD_1 src1_sel:DWORD
	v_fma_f16 v62, v38, s5, -v62
	v_fma_f16 v67, v24, s0, v66
	v_mul_f16_e32 v68, 0xb08e, v21
	v_add_f16_e32 v60, v62, v60
	v_fma_f16 v62, v42, s10, -v63
	v_add_f16_e32 v67, v5, v67
	v_fma_f16 v69, v27, s19, v68
	v_add_f16_e32 v60, v62, v60
	v_fma_f16 v62, v43, s7, -v64
	v_add_f16_e32 v67, v69, v67
	v_mul_f16_e32 v69, 0x3abb, v22
	v_add_f16_e32 v60, v62, v60
	v_fma_f16 v62, v44, s4, -v65
	v_fma_f16 v70, v30, s21, v69
	v_add_f16_e32 v60, v62, v60
	v_fma_f16 v62, v24, s16, v66
	v_add_f16_e32 v67, v70, v67
	v_mul_f16_e32 v70, 0xbbad, v23
	v_add_f16_e32 v62, v5, v62
	v_fma_f16 v63, v27, s18, v68
	v_fma_f16 v71, v32, s22, v70
	s_mov_b32 s0, 0xb482
	v_add_f16_e32 v62, v63, v62
	v_fma_f16 v63, v30, s17, v69
	v_add_f16_e32 v67, v71, v67
	v_mul_f16_e32 v71, 0x36a6, v26
	v_add_f16_e32 v62, v63, v62
	v_fma_f16 v63, v32, s0, v70
	v_add_f16_e32 v62, v63, v62
	v_fma_f16 v63, v36, s11, v71
	v_add_f16_e32 v62, v63, v62
	v_mul_f16_e32 v63, 0xb08e, v37
	v_sub_f16_e32 v55, v63, v55
	v_mul_f16_e32 v63, 0xbbad, v38
	v_sub_f16_e32 v56, v63, v56
	v_add_f16_sdwa v55, v5, v55 dst_sel:DWORD dst_unused:UNUSED_PAD src0_sel:WORD_1 src1_sel:DWORD
	v_add_f16_e32 v55, v56, v55
	v_mul_f16_e32 v56, 0x36a6, v42
	v_sub_f16_e32 v56, v56, v57
	v_add_f16_e32 v55, v56, v55
	v_mul_f16_e32 v56, 0x3abb, v43
	v_sub_f16_e32 v56, v56, v58
	;; [unrolled: 3-line block ×3, first 2 shown]
	v_add_f16_e32 v55, v56, v55
	v_mul_f16_e32 v56, 0xb08e, v20
	v_add_f16_e32 v40, v40, v56
	v_mul_f16_e32 v56, 0xbbad, v21
	v_add_f16_e32 v46, v46, v56
	v_add_f16_e32 v40, v5, v40
	;; [unrolled: 1-line block ×3, first 2 shown]
	v_mul_f16_e32 v46, 0x36a6, v22
	v_add_f16_e32 v46, v47, v46
	v_add_f16_e32 v40, v46, v40
	v_mul_f16_e32 v46, 0x3abb, v23
	v_add_f16_e32 v46, v48, v46
	v_add_f16_e32 v40, v46, v40
	;; [unrolled: 3-line block ×3, first 2 shown]
	v_mul_f16_e32 v46, 0x36a6, v37
	v_sub_f16_e32 v46, v46, v50
	v_mul_f16_e32 v47, 0xb93d, v38
	v_sub_f16_e32 v47, v47, v51
	v_add_f16_sdwa v46, v5, v46 dst_sel:DWORD dst_unused:UNUSED_PAD src0_sel:WORD_1 src1_sel:DWORD
	v_add_f16_e32 v46, v47, v46
	v_mul_f16_e32 v47, 0xbbad, v42
	v_sub_f16_e32 v47, v47, v52
	v_add_f16_e32 v46, v47, v46
	v_mul_f16_e32 v47, 0xb08e, v43
	v_sub_f16_e32 v47, v47, v53
	;; [unrolled: 3-line block ×3, first 2 shown]
	v_add_f16_e32 v46, v47, v46
	v_mul_f16_e32 v47, 0x36a6, v20
	v_add_f16_e32 v29, v29, v47
	v_mul_f16_e32 v47, 0xb93d, v21
	v_add_f16_e32 v33, v33, v47
	v_add_f16_e32 v29, v5, v29
	;; [unrolled: 1-line block ×3, first 2 shown]
	v_mul_f16_e32 v33, 0xbbad, v22
	v_add_f16_e32 v33, v35, v33
	v_fma_f16 v72, v36, s20, v71
	v_add_f16_e32 v29, v33, v29
	v_mul_f16_e32 v33, 0xb08e, v23
	v_add_f16_e32 v67, v72, v67
	v_pk_mul_f16 v72, v25, s0 op_sel_hi:[1,0]
	v_add_f16_e32 v33, v41, v33
	v_pk_fma_f16 v73, v20, s7, v72 op_sel:[0,0,1] op_sel_hi:[1,0,0]
	v_pk_mul_f16 v74, v28, s21 op_sel_hi:[1,0]
	v_add_f16_e32 v29, v33, v29
	v_mul_f16_e32 v33, 0x3abb, v26
	v_pk_add_f16 v73, v5, v73
	v_pk_fma_f16 v75, v21, s10, v74 op_sel:[0,0,1] op_sel_hi:[1,0,0]
	v_add_f16_e32 v33, v45, v33
	v_mul_f16_e32 v25, 0xb853, v25
	v_pk_add_f16 v73, v75, v73
	v_pk_mul_f16 v75, v31, s16 op_sel_hi:[1,0]
	v_add_f16_e32 v29, v33, v29
	v_fma_f16 v33, v37, s10, -v25
	v_mul_f16_e32 v28, 0xbb47, v28
	v_pk_fma_f16 v76, v22, s6, v75 op_sel:[0,0,1] op_sel_hi:[1,0,0]
	v_add_f16_sdwa v33, v5, v33 dst_sel:DWORD dst_unused:UNUSED_PAD src0_sel:WORD_1 src1_sel:DWORD
	v_fma_f16 v35, v38, s4, -v28
	v_mul_f16_e32 v31, 0xbbeb, v31
	v_pk_add_f16 v73, v76, v73
	v_pk_mul_f16 v76, v34, s11 op_sel_hi:[1,0]
	v_add_f16_e32 v33, v35, v33
	v_fma_f16 v35, v42, s5, -v31
	v_mul_f16_e32 v34, 0xba0c, v34
	v_pk_add_f16 v17, v5, v17
	v_add_f16_e32 v33, v35, v33
	v_fma_f16 v35, v43, s6, -v34
	v_pk_add_f16 v15, v17, v15
	v_pk_fma_f16 v77, v23, s4, v76 op_sel:[0,0,1] op_sel_hi:[1,0,0]
	v_add_f16_e32 v33, v35, v33
	v_mul_f16_e32 v35, 0xb482, v39
	v_pk_add_f16 v10, v15, v10
	v_pk_add_f16 v73, v77, v73
	v_pk_mul_f16 v77, v39, s19 op_sel_hi:[1,0]
	v_fma_f16 v39, v44, s7, -v35
	v_mul_f16_e32 v24, 0xb853, v24
	v_pk_add_f16 v8, v10, v8
	v_add_f16_e32 v33, v39, v33
	v_fma_f16 v39, v20, s10, v24
	v_mul_f16_e32 v27, 0xbb47, v27
	v_pk_add_f16 v6, v8, v6
	v_add_f16_e32 v39, v5, v39
	v_fma_f16 v41, v21, s4, v27
	;; [unrolled: 4-line block ×5, first 2 shown]
	v_pk_add_f16 v6, v6, v16
	v_mul_u32_u24_e32 v7, 44, v11
	v_add_f16_e32 v39, v41, v39
	v_pk_add_f16 v6, v6, v18
	v_add3_u32 v7, 0, v7, v19
	ds_write_b32 v7, v6
	v_pack_b32_f16 v6, v29, v46
	v_pack_b32_f16 v8, v39, v33
	ds_write2_b32 v7, v8, v6 offset0:1 offset1:2
	v_pack_b32_f16 v6, v40, v55
	v_pack_b32_f16 v8, v62, v60
	v_fma_f16 v25, v37, s10, v25
	v_fma_f16 v24, v20, s10, -v24
	ds_write2_b32 v7, v6, v8 offset0:3 offset1:4
	v_pk_fma_f16 v6, v20, s7, v72 op_sel:[0,0,1] op_sel_hi:[1,0,0] neg_lo:[0,0,1] neg_hi:[0,0,1]
	v_add_f16_sdwa v25, v5, v25 dst_sel:DWORD dst_unused:UNUSED_PAD src0_sel:WORD_1 src1_sel:DWORD
	v_add_f16_e32 v24, v5, v24
	v_pk_add_f16 v5, v5, v6
	v_pk_fma_f16 v6, v21, s10, v74 op_sel:[0,0,1] op_sel_hi:[1,0,0] neg_lo:[0,0,1] neg_hi:[0,0,1]
	v_pk_add_f16 v5, v6, v5
	v_pk_fma_f16 v6, v22, s6, v75 op_sel:[0,0,1] op_sel_hi:[1,0,0] neg_lo:[0,0,1] neg_hi:[0,0,1]
	v_fma_f16 v28, v38, s4, v28
	v_fma_f16 v27, v21, s4, -v27
	v_pk_add_f16 v5, v6, v5
	v_pk_fma_f16 v6, v23, s4, v76 op_sel:[0,0,1] op_sel_hi:[1,0,0] neg_lo:[0,0,1] neg_hi:[0,0,1]
	v_pk_fma_f16 v78, v26, s5, v77 op_sel:[0,0,1] op_sel_hi:[1,0,0]
	v_add_f16_e32 v25, v28, v25
	v_fma_f16 v28, v42, s5, v31
	v_add_f16_e32 v24, v27, v24
	v_fma_f16 v27, v22, s5, -v30
	v_pk_add_f16 v5, v6, v5
	v_pk_fma_f16 v6, v26, s5, v77 op_sel:[0,0,1] op_sel_hi:[1,0,0] neg_lo:[0,0,1] neg_hi:[0,0,1]
	v_pk_add_f16 v73, v78, v73
	v_add_f16_e32 v25, v28, v25
	v_fma_f16 v28, v43, s6, v34
	v_add_f16_e32 v24, v27, v24
	v_fma_f16 v27, v23, s6, -v32
	v_pk_add_f16 v5, v6, v5
	s_mov_b32 s0, 0xffff
	v_add_f16_e32 v25, v28, v25
	v_fma_f16 v28, v44, s7, v35
	v_add_f16_e32 v24, v27, v24
	v_fma_f16 v27, v26, s7, -v36
	v_bfi_b32 v6, s0, v5, v73
	v_bfi_b32 v5, s0, v73, v5
	s_mov_b32 s0, 0x5040100
	v_add_f16_e32 v25, v28, v25
	v_add_f16_e32 v24, v27, v24
	ds_write2_b32 v7, v5, v6 offset0:5 offset1:6
	v_pack_b32_f16 v5, v67, v61
	v_perm_b32 v6, v12, v3, s0
	ds_write2_b32 v7, v5, v6 offset0:7 offset1:8
	v_pack_b32_f16 v5, v24, v25
	v_perm_b32 v6, v13, v4, s0
	ds_write2_b32 v7, v6, v5 offset0:9 offset1:10
.LBB0_14:
	s_or_b64 exec, exec, s[2:3]
	v_lshlrev_b32_e32 v5, 2, v11
	v_add3_u32 v15, 0, v5, v19
	s_waitcnt lgkmcnt(0)
	s_barrier
	v_add3_u32 v14, 0, v19, v5
	ds_read2_b32 v[7:8], v15 offset0:66 offset1:99
	ds_read2_b32 v[5:6], v15 offset0:22 offset1:44
	;; [unrolled: 1-line block ×3, first 2 shown]
	ds_read_b32 v16, v14
	ds_read_b32 v17, v15 offset:660
	v_cmp_gt_u32_e64 s[0:1], 11, v11
	s_and_saveexec_b64 s[2:3], s[0:1]
	s_cbranch_execz .LBB0_16
; %bb.15:
	ds_read2_b32 v[3:4], v15 offset0:88 offset1:187
	s_waitcnt lgkmcnt(0)
	v_lshrrev_b32_e32 v12, 16, v3
	v_lshrrev_b32_e32 v13, 16, v4
.LBB0_16:
	s_or_b64 exec, exec, s[2:3]
	v_add_u32_e32 v18, -11, v11
	v_cndmask_b32_e64 v20, v18, v11, s[0:1]
	v_mov_b32_e32 v21, 0
	v_lshlrev_b64 v[21:22], 2, v[20:21]
	v_mov_b32_e32 v18, s9
	v_add_co_u32_e64 v21, s[2:3], s8, v21
	v_addc_co_u32_e64 v22, s[2:3], v18, v22, s[2:3]
	v_add_u16_e32 v18, 22, v11
	s_movk_i32 s4, 0x75
	v_mul_lo_u16_sdwa v23, v18, s4 dst_sel:DWORD dst_unused:UNUSED_PAD src0_sel:BYTE_0 src1_sel:DWORD
	v_sub_u16_sdwa v24, v18, v23 dst_sel:DWORD dst_unused:UNUSED_PAD src0_sel:DWORD src1_sel:BYTE_1
	v_lshrrev_b16_e32 v24, 1, v24
	v_and_b32_e32 v24, 0x7f, v24
	v_add_u16_sdwa v23, v24, v23 dst_sel:DWORD dst_unused:UNUSED_PAD src0_sel:DWORD src1_sel:BYTE_1
	v_lshrrev_b16_e32 v23, 3, v23
	v_mul_lo_u16_e32 v24, 11, v23
	v_sub_u16_e32 v24, v18, v24
	v_add_u16_e32 v18, 44, v11
	v_mul_lo_u16_sdwa v25, v18, s4 dst_sel:DWORD dst_unused:UNUSED_PAD src0_sel:BYTE_0 src1_sel:DWORD
	v_sub_u16_sdwa v26, v18, v25 dst_sel:DWORD dst_unused:UNUSED_PAD src0_sel:DWORD src1_sel:BYTE_1
	v_lshrrev_b16_e32 v26, 1, v26
	v_and_b32_e32 v26, 0x7f, v26
	v_add_u16_sdwa v25, v26, v25 dst_sel:DWORD dst_unused:UNUSED_PAD src0_sel:DWORD src1_sel:BYTE_1
	v_lshrrev_b16_e32 v25, 3, v25
	v_mul_lo_u16_e32 v26, 11, v25
	v_sub_u16_e32 v26, v18, v26
	v_add_u16_e32 v18, 0x42, v11
	v_mul_lo_u16_sdwa v27, v18, s4 dst_sel:DWORD dst_unused:UNUSED_PAD src0_sel:BYTE_0 src1_sel:DWORD
	v_sub_u16_sdwa v28, v18, v27 dst_sel:DWORD dst_unused:UNUSED_PAD src0_sel:DWORD src1_sel:BYTE_1
	v_lshrrev_b16_e32 v28, 1, v28
	v_and_b32_e32 v28, 0x7f, v28
	v_add_u16_sdwa v27, v28, v27 dst_sel:DWORD dst_unused:UNUSED_PAD src0_sel:DWORD src1_sel:BYTE_1
	v_lshrrev_b16_e32 v27, 3, v27
	v_mul_lo_u16_e32 v28, 11, v27
	v_sub_u16_e32 v28, v18, v28
	v_mov_b32_e32 v18, 2
	v_lshlrev_b32_sdwa v28, v18, v28 dst_sel:DWORD dst_unused:UNUSED_PAD src0_sel:DWORD src1_sel:BYTE_0
	v_lshlrev_b32_sdwa v24, v18, v24 dst_sel:DWORD dst_unused:UNUSED_PAD src0_sel:DWORD src1_sel:BYTE_0
	;; [unrolled: 1-line block ×3, first 2 shown]
	global_load_dword v29, v28, s[8:9]
	global_load_dword v30, v26, s[8:9]
	;; [unrolled: 1-line block ×3, first 2 shown]
	global_load_dword v32, v[21:22], off
	v_mov_b32_e32 v21, 0x58
	v_cmp_lt_u32_e64 s[2:3], 10, v11
	v_cndmask_b32_e64 v21, 0, v21, s[2:3]
	s_movk_i32 s5, 0x58
	v_add_u32_e32 v21, 0, v21
	v_lshlrev_b32_e32 v20, 2, v20
	v_add3_u32 v20, v21, v20, v19
	v_mad_u32_u24 v21, v23, s5, 0
	v_mad_u32_u24 v22, v25, s5, 0
	;; [unrolled: 1-line block ×3, first 2 shown]
	v_add3_u32 v21, v21, v24, v19
	v_add3_u32 v22, v22, v26, v19
	s_mov_b32 s6, 0xffff
	v_add3_u32 v23, v23, v28, v19
	s_waitcnt vmcnt(0) lgkmcnt(0)
	s_barrier
	v_pk_mul_f16 v24, v29, v17 op_sel:[0,1]
	v_pk_mul_f16 v25, v30, v10 op_sel:[0,1]
	v_pk_mul_f16 v26, v31, v9 op_sel:[0,1]
	v_pk_mul_f16 v27, v32, v8 op_sel:[0,1]
	v_pk_fma_f16 v28, v29, v17, v24 op_sel:[0,0,1] op_sel_hi:[1,1,0]
	v_pk_fma_f16 v17, v29, v17, v24 op_sel:[0,0,1] op_sel_hi:[1,0,0] neg_lo:[1,0,0] neg_hi:[1,0,0]
	v_pk_fma_f16 v24, v30, v10, v25 op_sel:[0,0,1] op_sel_hi:[1,1,0]
	v_pk_fma_f16 v10, v30, v10, v25 op_sel:[0,0,1] op_sel_hi:[1,0,0] neg_lo:[1,0,0] neg_hi:[1,0,0]
	;; [unrolled: 2-line block ×4, first 2 shown]
	v_bfi_b32 v8, s6, v26, v8
	v_bfi_b32 v17, s6, v28, v17
	;; [unrolled: 1-line block ×4, first 2 shown]
	v_pk_add_f16 v8, v16, v8 neg_lo:[0,1] neg_hi:[0,1]
	v_pk_add_f16 v17, v7, v17 neg_lo:[0,1] neg_hi:[0,1]
	;; [unrolled: 1-line block ×4, first 2 shown]
	v_pk_fma_f16 v16, v16, 2.0, v8 op_sel_hi:[1,0,1] neg_lo:[0,0,1] neg_hi:[0,0,1]
	v_pk_fma_f16 v7, v7, 2.0, v17 op_sel_hi:[1,0,1] neg_lo:[0,0,1] neg_hi:[0,0,1]
	;; [unrolled: 1-line block ×4, first 2 shown]
	ds_write2_b32 v20, v16, v8 offset1:11
	ds_write2_b32 v21, v5, v9 offset1:11
	;; [unrolled: 1-line block ×4, first 2 shown]
	s_and_saveexec_b64 s[2:3], s[0:1]
	s_cbranch_execz .LBB0_18
; %bb.17:
	v_add_u16_e32 v5, 0x58, v11
	v_mul_lo_u16_sdwa v6, v5, s4 dst_sel:DWORD dst_unused:UNUSED_PAD src0_sel:BYTE_0 src1_sel:DWORD
	v_sub_u16_sdwa v7, v5, v6 dst_sel:DWORD dst_unused:UNUSED_PAD src0_sel:DWORD src1_sel:BYTE_1
	v_lshrrev_b16_e32 v7, 1, v7
	v_and_b32_e32 v7, 0x7f, v7
	v_add_u16_sdwa v6, v7, v6 dst_sel:DWORD dst_unused:UNUSED_PAD src0_sel:DWORD src1_sel:BYTE_1
	v_lshrrev_b16_e32 v6, 3, v6
	v_mul_lo_u16_e32 v6, 11, v6
	v_sub_u16_e32 v5, v5, v6
	v_lshlrev_b32_sdwa v5, v18, v5 dst_sel:DWORD dst_unused:UNUSED_PAD src0_sel:DWORD src1_sel:BYTE_0
	global_load_dword v6, v5, s[8:9]
	v_add3_u32 v5, 0, v5, v19
	s_waitcnt vmcnt(0)
	v_mul_f16_sdwa v7, v13, v6 dst_sel:DWORD dst_unused:UNUSED_PAD src0_sel:DWORD src1_sel:WORD_1
	v_mul_f16_sdwa v8, v4, v6 dst_sel:DWORD dst_unused:UNUSED_PAD src0_sel:DWORD src1_sel:WORD_1
	v_fma_f16 v4, v4, v6, v7
	v_fma_f16 v6, v13, v6, -v8
	v_sub_f16_e32 v4, v3, v4
	v_sub_f16_e32 v6, v12, v6
	v_fma_f16 v3, v3, 2.0, -v4
	v_fma_f16 v7, v12, 2.0, -v6
	v_pack_b32_f16 v3, v3, v7
	v_pack_b32_f16 v4, v4, v6
	ds_write2_b32 v5, v3, v4 offset0:176 offset1:187
.LBB0_18:
	s_or_b64 exec, exec, s[2:3]
	s_waitcnt lgkmcnt(0)
	s_barrier
	s_and_saveexec_b64 s[0:1], vcc
	s_cbranch_execz .LBB0_20
; %bb.19:
	v_lshlrev_b32_e32 v3, 3, v11
	v_mov_b32_e32 v4, 0
	v_lshlrev_b64 v[3:4], 2, v[3:4]
	v_mov_b32_e32 v5, s9
	v_add_co_u32_e32 v11, vcc, s8, v3
	v_addc_co_u32_e32 v12, vcc, v5, v4, vcc
	global_load_dwordx4 v[3:6], v[11:12], off offset:44
	global_load_dwordx4 v[7:10], v[11:12], off offset:60
	ds_read2_b32 v[11:12], v15 offset0:22 offset1:44
	ds_read2_b32 v[16:17], v15 offset0:154 offset1:176
	;; [unrolled: 1-line block ×4, first 2 shown]
	ds_read_b32 v13, v14
	s_waitcnt lgkmcnt(4)
	v_lshrrev_b32_e32 v24, 16, v12
	v_lshrrev_b32_e32 v14, 16, v11
	s_waitcnt lgkmcnt(2)
	v_lshrrev_b32_e32 v22, 16, v18
	v_lshrrev_b32_e32 v26, 16, v19
	;; [unrolled: 3-line block ×3, first 2 shown]
	v_lshrrev_b32_e32 v25, 16, v16
	v_lshrrev_b32_e32 v15, 16, v17
	s_movk_i32 s4, 0x3a21
	s_mov_b32 s1, 0xb924
	s_movk_i32 s5, 0x318f
	s_movk_i32 s2, 0x3aee
	s_movk_i32 s3, 0x3579
	s_mov_b32 s6, 0xbb84
	s_movk_i32 s0, 0x3be1
	v_lshlrev_b64 v[1:2], 2, v[1:2]
	s_waitcnt vmcnt(1)
	v_mul_f16_sdwa v32, v5, v18 dst_sel:DWORD dst_unused:UNUSED_PAD src0_sel:WORD_1 src1_sel:DWORD
	s_waitcnt vmcnt(0)
	v_lshrrev_b32_e32 v29, 16, v8
	v_lshrrev_b32_e32 v30, 16, v9
	;; [unrolled: 1-line block ×3, first 2 shown]
	v_mul_f16_sdwa v33, v4, v12 dst_sel:DWORD dst_unused:UNUSED_PAD src0_sel:WORD_1 src1_sel:DWORD
	v_mul_f16_sdwa v34, v6, v19 dst_sel:DWORD dst_unused:UNUSED_PAD src0_sel:WORD_1 src1_sel:DWORD
	;; [unrolled: 1-line block ×5, first 2 shown]
	v_mul_f16_e32 v38, v9, v16
	v_mul_f16_sdwa v39, v4, v24 dst_sel:DWORD dst_unused:UNUSED_PAD src0_sel:WORD_1 src1_sel:DWORD
	v_mul_f16_e32 v40, v8, v21
	v_mul_f16_sdwa v41, v5, v22 dst_sel:DWORD dst_unused:UNUSED_PAD src0_sel:WORD_1 src1_sel:DWORD
	v_mul_f16_sdwa v28, v3, v11 dst_sel:DWORD dst_unused:UNUSED_PAD src0_sel:WORD_1 src1_sel:DWORD
	v_mul_f16_e32 v42, v10, v17
	v_mul_f16_sdwa v43, v3, v14 dst_sel:DWORD dst_unused:UNUSED_PAD src0_sel:WORD_1 src1_sel:DWORD
	v_mul_f16_e32 v17, v31, v17
	v_fma_f16 v22, v5, v22, -v32
	v_fma_f16 v24, v4, v24, -v33
	v_mul_f16_e32 v16, v30, v16
	v_fma_f16 v26, v6, v26, -v34
	v_fma_f16 v27, v7, v27, -v35
	v_fma_f16 v7, v7, v20, v36
	v_fma_f16 v6, v6, v19, v37
	;; [unrolled: 1-line block ×6, first 2 shown]
	v_fma_f16 v14, v3, v14, -v28
	v_mul_f16_e32 v21, v29, v21
	v_fma_f16 v3, v3, v11, v43
	v_fma_f16 v10, v10, v15, -v17
	v_fma_f16 v9, v9, v25, -v16
	v_sub_f16_e32 v11, v26, v27
	v_add_f16_e32 v16, v4, v19
	v_add_f16_e32 v17, v5, v12
	v_sub_f16_e32 v5, v5, v12
	v_sub_f16_e32 v12, v6, v7
	v_fma_f16 v18, v15, v31, v42
	v_fma_f16 v8, v8, v23, -v21
	v_add_f16_e32 v15, v6, v7
	v_sub_f16_e32 v4, v4, v19
	v_sub_f16_e32 v23, v24, v9
	v_mul_f16_e32 v25, 0x3be1, v11
	s_waitcnt lgkmcnt(0)
	v_fma_f16 v28, v16, s4, v13
	v_mul_f16_e32 v29, 0x3be1, v12
	v_add_f16_e32 v9, v24, v9
	v_fma_f16 v24, v23, s1, -v25
	v_fma_f16 v25, v15, s5, v28
	v_fma_f16 v28, v4, s1, -v29
	v_lshrrev_b32_e32 v29, 16, v13
	v_add_f16_e32 v20, v3, v18
	v_sub_f16_e32 v3, v3, v18
	v_add_f16_e32 v18, v26, v27
	v_fma_f16 v30, v9, s4, v29
	v_sub_f16_e32 v21, v22, v8
	v_fma_f16 v30, v18, s5, v30
	v_add_f16_e32 v8, v22, v8
	v_sub_f16_e32 v19, v14, v10
	v_fma_f16 v28, v5, s2, v28
	v_fma_f16 v22, v8, -0.5, v30
	v_add_f16_e32 v10, v14, v10
	v_fma_f16 v28, v3, s3, v28
	v_fma_f16 v14, v10, s6, v22
	v_add_f16_e32 v14, v28, v14
	v_fma_f16 v22, v28, -2.0, v14
	v_add_f16_e32 v28, v10, v9
	v_add_f16_e32 v30, v8, v28
	;; [unrolled: 1-line block ×10, first 2 shown]
	v_fma_f16 v7, v27, -0.5, v7
	v_add_f16_e32 v27, v19, v11
	v_sub_f16_e32 v27, v27, v23
	s_mov_b32 s1, 0xbaee
	v_mul_f16_e32 v33, 0xb924, v12
	v_mul_f16_e32 v30, 0x3aee, v27
	v_fma_f16 v7, v27, s1, v7
	v_add_f16_e32 v32, v8, v29
	v_add_f16_e32 v28, v28, v18
	v_fma_f16 v33, v3, s0, v33
	v_fma_f16 v27, v30, 2.0, v7
	v_add_f16_e32 v30, v3, v12
	v_fma_f16 v28, v28, -0.5, v32
	v_mul_f16_e32 v32, 0xb924, v11
	v_fma_f16 v33, v5, s1, v33
	v_sub_f16_e32 v30, v30, v4
	v_fma_f16 v32, v19, s0, v32
	v_fma_f16 v33, v4, s3, v33
	s_movk_i32 s0, 0x3924
	v_mul_f16_e32 v4, 0x3be1, v4
	v_fma_f16 v32, v21, s1, v32
	v_fma_f16 v3, v3, s0, v4
	;; [unrolled: 1-line block ×4, first 2 shown]
	v_mul_f16_e32 v23, 0x3be1, v23
	v_fma_f16 v3, v5, s2, v3
	v_fma_f16 v24, v19, s3, v24
	;; [unrolled: 1-line block ×4, first 2 shown]
	v_mad_u64_u32 v[3:4], s[0:1], s12, v0, 0
	v_fma_f16 v34, v18, s4, v29
	v_fma_f16 v5, v10, s4, v29
	;; [unrolled: 1-line block ×4, first 2 shown]
	v_fma_f16 v34, v8, -0.5, v34
	v_fma_f16 v8, v8, -0.5, v5
	v_mad_u64_u32 v[4:5], s[0:1], s13, v0, v[4:5]
	v_fma_f16 v5, v18, s6, v8
	v_add_f16_e32 v8, v12, v5
	v_mov_b32_e32 v5, s15
	v_add_co_u32_e32 v10, vcc, s14, v1
	v_fma_f16 v34, v9, s6, v34
	v_fma_f16 v9, v12, -2.0, v8
	v_addc_co_u32_e32 v12, vcc, v5, v2, vcc
	v_add_u32_e32 v5, 22, v0
	v_mul_f16_e32 v31, 0x3aee, v30
	v_fma_f16 v28, v30, s2, v28
	v_lshlrev_b64 v[1:2], 2, v[3:4]
	v_mad_u64_u32 v[3:4], s[0:1], s12, v5, 0
	v_fma_f16 v30, v31, -2.0, v28
	v_fma_f16 v31, v15, s4, v13
	v_add_f16_e32 v6, v13, v6
	v_fma_f16 v31, v20, s5, v31
	v_fma_f16 v13, v20, s4, v13
	v_fma_f16 v31, v17, -0.5, v31
	v_fma_f16 v13, v16, s5, v13
	v_add_f16_e32 v26, v29, v26
	v_fma_f16 v31, v16, s6, v31
	v_fma_f16 v13, v17, -0.5, v13
	v_mad_u64_u32 v[4:5], s[0:1], s13, v5, v[4:5]
	v_add_u32_e32 v16, 44, v0
	v_fma_f16 v13, v15, s6, v13
	v_pack_b32_f16 v15, v6, v26
	v_mad_u64_u32 v[5:6], s[0:1], s12, v16, 0
	v_add_co_u32_e32 v1, vcc, v10, v1
	v_addc_co_u32_e32 v2, vcc, v12, v2, vcc
	global_store_dword v[1:2], v15, off
	v_lshlrev_b64 v[1:2], 2, v[3:4]
	v_mov_b32_e32 v3, v6
	v_mad_u64_u32 v[3:4], s[0:1], s13, v16, v[3:4]
	v_fma_f16 v19, v21, s2, v19
	v_fma_f16 v11, v11, s3, v19
	v_sub_f16_e32 v13, v13, v11
	v_add_co_u32_e32 v1, vcc, v10, v1
	v_addc_co_u32_e32 v2, vcc, v12, v2, vcc
	v_pack_b32_f16 v4, v13, v8
	v_mov_b32_e32 v6, v3
	global_store_dword v[1:2], v4, off
	v_lshlrev_b64 v[1:2], 2, v[5:6]
	v_add_u32_e32 v5, 0x42, v0
	v_mad_u64_u32 v[3:4], s[0:1], s12, v5, 0
	v_fma_f16 v11, v11, 2.0, v13
	v_add_u32_e32 v13, 0x58, v0
	v_mad_u64_u32 v[4:5], s[0:1], s13, v5, v[4:5]
	v_mad_u64_u32 v[5:6], s[0:1], s12, v13, 0
	v_sub_f16_e32 v31, v31, v32
	v_add_f16_e32 v34, v33, v34
	v_add_co_u32_e32 v1, vcc, v10, v1
	v_addc_co_u32_e32 v2, vcc, v12, v2, vcc
	v_pack_b32_f16 v8, v31, v34
	global_store_dword v[1:2], v8, off
	v_lshlrev_b64 v[1:2], 2, v[3:4]
	v_mov_b32_e32 v3, v6
	v_mad_u64_u32 v[3:4], s[0:1], s13, v13, v[3:4]
	v_add_co_u32_e32 v1, vcc, v10, v1
	v_addc_co_u32_e32 v2, vcc, v12, v2, vcc
	v_pack_b32_f16 v4, v7, v28
	v_mov_b32_e32 v6, v3
	global_store_dword v[1:2], v4, off
	v_lshlrev_b64 v[1:2], 2, v[5:6]
	v_add_u32_e32 v5, 0x6e, v0
	v_mad_u64_u32 v[3:4], s[0:1], s12, v5, 0
	v_add_u32_e32 v8, 0x84, v0
	v_fma_f16 v25, v17, -0.5, v25
	v_mad_u64_u32 v[4:5], s[0:1], s13, v5, v[4:5]
	v_mad_u64_u32 v[5:6], s[0:1], s12, v8, 0
	v_fma_f16 v25, v20, s6, v25
	v_sub_f16_e32 v25, v25, v24
	v_add_co_u32_e32 v1, vcc, v10, v1
	v_addc_co_u32_e32 v2, vcc, v12, v2, vcc
	v_pack_b32_f16 v7, v25, v14
	global_store_dword v[1:2], v7, off
	v_lshlrev_b64 v[1:2], 2, v[3:4]
	v_mov_b32_e32 v3, v6
	v_mad_u64_u32 v[3:4], s[0:1], s13, v8, v[3:4]
	v_fma_f16 v24, v24, 2.0, v25
	v_add_co_u32_e32 v1, vcc, v10, v1
	v_addc_co_u32_e32 v2, vcc, v12, v2, vcc
	v_pack_b32_f16 v4, v24, v22
	v_mov_b32_e32 v6, v3
	global_store_dword v[1:2], v4, off
	v_lshlrev_b64 v[1:2], 2, v[5:6]
	v_add_u32_e32 v5, 0x9a, v0
	v_mad_u64_u32 v[3:4], s[0:1], s12, v5, 0
	v_add_u32_e32 v8, 0xb0, v0
	v_add_co_u32_e32 v1, vcc, v10, v1
	v_mad_u64_u32 v[4:5], s[0:1], s13, v5, v[4:5]
	v_mad_u64_u32 v[5:6], s[0:1], s12, v8, 0
	v_addc_co_u32_e32 v2, vcc, v12, v2, vcc
	v_pack_b32_f16 v7, v27, v30
	global_store_dword v[1:2], v7, off
	v_mov_b32_e32 v2, v6
	v_lshlrev_b64 v[0:1], 2, v[3:4]
	v_mad_u64_u32 v[2:3], s[0:1], s13, v8, v[2:3]
	v_fma_f16 v32, v32, 2.0, v31
	v_fma_f16 v33, v33, -2.0, v34
	v_add_co_u32_e32 v0, vcc, v10, v0
	v_addc_co_u32_e32 v1, vcc, v12, v1, vcc
	v_pack_b32_f16 v3, v32, v33
	v_mov_b32_e32 v6, v2
	global_store_dword v[0:1], v3, off
	v_lshlrev_b64 v[0:1], 2, v[5:6]
	v_pack_b32_f16 v2, v11, v9
	v_add_co_u32_e32 v0, vcc, v10, v0
	v_addc_co_u32_e32 v1, vcc, v12, v1, vcc
	global_store_dword v[0:1], v2, off
.LBB0_20:
	s_endpgm
	.section	.rodata,"a",@progbits
	.p2align	6, 0x0
	.amdhsa_kernel fft_rtc_back_len198_factors_11_2_9_wgs_110_tpt_22_half_ip_CI_sbrr_dirReg
		.amdhsa_group_segment_fixed_size 0
		.amdhsa_private_segment_fixed_size 0
		.amdhsa_kernarg_size 88
		.amdhsa_user_sgpr_count 6
		.amdhsa_user_sgpr_private_segment_buffer 1
		.amdhsa_user_sgpr_dispatch_ptr 0
		.amdhsa_user_sgpr_queue_ptr 0
		.amdhsa_user_sgpr_kernarg_segment_ptr 1
		.amdhsa_user_sgpr_dispatch_id 0
		.amdhsa_user_sgpr_flat_scratch_init 0
		.amdhsa_user_sgpr_private_segment_size 0
		.amdhsa_uses_dynamic_stack 0
		.amdhsa_system_sgpr_private_segment_wavefront_offset 0
		.amdhsa_system_sgpr_workgroup_id_x 1
		.amdhsa_system_sgpr_workgroup_id_y 0
		.amdhsa_system_sgpr_workgroup_id_z 0
		.amdhsa_system_sgpr_workgroup_info 0
		.amdhsa_system_vgpr_workitem_id 0
		.amdhsa_next_free_vgpr 79
		.amdhsa_next_free_sgpr 24
		.amdhsa_reserve_vcc 1
		.amdhsa_reserve_flat_scratch 0
		.amdhsa_float_round_mode_32 0
		.amdhsa_float_round_mode_16_64 0
		.amdhsa_float_denorm_mode_32 3
		.amdhsa_float_denorm_mode_16_64 3
		.amdhsa_dx10_clamp 1
		.amdhsa_ieee_mode 1
		.amdhsa_fp16_overflow 0
		.amdhsa_exception_fp_ieee_invalid_op 0
		.amdhsa_exception_fp_denorm_src 0
		.amdhsa_exception_fp_ieee_div_zero 0
		.amdhsa_exception_fp_ieee_overflow 0
		.amdhsa_exception_fp_ieee_underflow 0
		.amdhsa_exception_fp_ieee_inexact 0
		.amdhsa_exception_int_div_zero 0
	.end_amdhsa_kernel
	.text
.Lfunc_end0:
	.size	fft_rtc_back_len198_factors_11_2_9_wgs_110_tpt_22_half_ip_CI_sbrr_dirReg, .Lfunc_end0-fft_rtc_back_len198_factors_11_2_9_wgs_110_tpt_22_half_ip_CI_sbrr_dirReg
                                        ; -- End function
	.section	.AMDGPU.csdata,"",@progbits
; Kernel info:
; codeLenInByte = 6508
; NumSgprs: 28
; NumVgprs: 79
; ScratchSize: 0
; MemoryBound: 0
; FloatMode: 240
; IeeeMode: 1
; LDSByteSize: 0 bytes/workgroup (compile time only)
; SGPRBlocks: 3
; VGPRBlocks: 19
; NumSGPRsForWavesPerEU: 28
; NumVGPRsForWavesPerEU: 79
; Occupancy: 3
; WaveLimiterHint : 1
; COMPUTE_PGM_RSRC2:SCRATCH_EN: 0
; COMPUTE_PGM_RSRC2:USER_SGPR: 6
; COMPUTE_PGM_RSRC2:TRAP_HANDLER: 0
; COMPUTE_PGM_RSRC2:TGID_X_EN: 1
; COMPUTE_PGM_RSRC2:TGID_Y_EN: 0
; COMPUTE_PGM_RSRC2:TGID_Z_EN: 0
; COMPUTE_PGM_RSRC2:TIDIG_COMP_CNT: 0
	.type	__hip_cuid_380a4f8323633c2c,@object ; @__hip_cuid_380a4f8323633c2c
	.section	.bss,"aw",@nobits
	.globl	__hip_cuid_380a4f8323633c2c
__hip_cuid_380a4f8323633c2c:
	.byte	0                               ; 0x0
	.size	__hip_cuid_380a4f8323633c2c, 1

	.ident	"AMD clang version 19.0.0git (https://github.com/RadeonOpenCompute/llvm-project roc-6.4.0 25133 c7fe45cf4b819c5991fe208aaa96edf142730f1d)"
	.section	".note.GNU-stack","",@progbits
	.addrsig
	.addrsig_sym __hip_cuid_380a4f8323633c2c
	.amdgpu_metadata
---
amdhsa.kernels:
  - .args:
      - .actual_access:  read_only
        .address_space:  global
        .offset:         0
        .size:           8
        .value_kind:     global_buffer
      - .offset:         8
        .size:           8
        .value_kind:     by_value
      - .actual_access:  read_only
        .address_space:  global
        .offset:         16
        .size:           8
        .value_kind:     global_buffer
      - .actual_access:  read_only
        .address_space:  global
        .offset:         24
        .size:           8
        .value_kind:     global_buffer
      - .offset:         32
        .size:           8
        .value_kind:     by_value
      - .actual_access:  read_only
        .address_space:  global
        .offset:         40
        .size:           8
        .value_kind:     global_buffer
      - .actual_access:  read_only
        .address_space:  global
        .offset:         48
        .size:           8
        .value_kind:     global_buffer
      - .offset:         56
        .size:           4
        .value_kind:     by_value
      - .actual_access:  read_only
        .address_space:  global
        .offset:         64
        .size:           8
        .value_kind:     global_buffer
      - .actual_access:  read_only
        .address_space:  global
        .offset:         72
        .size:           8
        .value_kind:     global_buffer
      - .address_space:  global
        .offset:         80
        .size:           8
        .value_kind:     global_buffer
    .group_segment_fixed_size: 0
    .kernarg_segment_align: 8
    .kernarg_segment_size: 88
    .language:       OpenCL C
    .language_version:
      - 2
      - 0
    .max_flat_workgroup_size: 110
    .name:           fft_rtc_back_len198_factors_11_2_9_wgs_110_tpt_22_half_ip_CI_sbrr_dirReg
    .private_segment_fixed_size: 0
    .sgpr_count:     28
    .sgpr_spill_count: 0
    .symbol:         fft_rtc_back_len198_factors_11_2_9_wgs_110_tpt_22_half_ip_CI_sbrr_dirReg.kd
    .uniform_work_group_size: 1
    .uses_dynamic_stack: false
    .vgpr_count:     79
    .vgpr_spill_count: 0
    .wavefront_size: 64
amdhsa.target:   amdgcn-amd-amdhsa--gfx906
amdhsa.version:
  - 1
  - 2
...

	.end_amdgpu_metadata
